;; amdgpu-corpus repo=ROCm/rocFFT kind=compiled arch=gfx1201 opt=O3
	.text
	.amdgcn_target "amdgcn-amd-amdhsa--gfx1201"
	.amdhsa_code_object_version 6
	.protected	bluestein_single_fwd_len343_dim1_sp_op_CI_CI ; -- Begin function bluestein_single_fwd_len343_dim1_sp_op_CI_CI
	.globl	bluestein_single_fwd_len343_dim1_sp_op_CI_CI
	.p2align	8
	.type	bluestein_single_fwd_len343_dim1_sp_op_CI_CI,@function
bluestein_single_fwd_len343_dim1_sp_op_CI_CI: ; @bluestein_single_fwd_len343_dim1_sp_op_CI_CI
; %bb.0:
	s_load_b128 s[16:19], s[0:1], 0x28
	v_mul_u32_u24_e32 v1, 0x53a, v0
	s_mov_b32 s2, exec_lo
	s_delay_alu instid0(VALU_DEP_1) | instskip(NEXT) | instid1(VALU_DEP_1)
	v_lshrrev_b32_e32 v1, 16, v1
	v_mad_co_u64_u32 v[24:25], null, ttmp9, 5, v[1:2]
	v_mov_b32_e32 v25, 0
	s_wait_kmcnt 0x0
	s_delay_alu instid0(VALU_DEP_1)
	v_cmpx_gt_u64_e64 s[16:17], v[24:25]
	s_cbranch_execz .LBB0_2
; %bb.1:
	s_clause 0x1
	s_load_b128 s[4:7], s[0:1], 0x18
	s_load_b128 s[8:11], s[0:1], 0x0
	v_mul_lo_u16 v1, v1, 49
	v_mul_hi_u32 v14, 0xcccccccd, v24
	s_load_b64 s[0:1], s[0:1], 0x38
	s_delay_alu instid0(VALU_DEP_2) | instskip(NEXT) | instid1(VALU_DEP_2)
	v_sub_nc_u16 v18, v0, v1
	v_lshrrev_b32_e32 v14, 2, v14
	s_delay_alu instid0(VALU_DEP_2) | instskip(NEXT) | instid1(VALU_DEP_2)
	v_and_b32_e32 v39, 0xffff, v18
	v_lshl_add_u32 v14, v14, 2, v14
	s_delay_alu instid0(VALU_DEP_2)
	v_lshlrev_b32_e32 v41, 3, v39
	s_wait_kmcnt 0x0
	s_load_b128 s[12:15], s[4:5], 0x0
	s_clause 0x3
	global_load_b64 v[25:26], v41, s[8:9]
	global_load_b64 v[27:28], v41, s[8:9] offset:392
	global_load_b64 v[29:30], v41, s[8:9] offset:784
	;; [unrolled: 1-line block ×3, first 2 shown]
	v_and_b32_e32 v15, 0xff, v18
	v_sub_nc_u32_e32 v14, v24, v14
	s_delay_alu instid0(VALU_DEP_2) | instskip(NEXT) | instid1(VALU_DEP_2)
	v_mul_lo_u16 v15, v15, 37
	v_mul_u32_u24_e32 v14, 0x157, v14
	s_delay_alu instid0(VALU_DEP_2) | instskip(NEXT) | instid1(VALU_DEP_1)
	v_lshrrev_b16 v15, 8, v15
	v_sub_nc_u16 v16, v18, v15
	s_wait_kmcnt 0x0
	v_mad_co_u64_u32 v[0:1], null, s14, v24, 0
	v_mad_co_u64_u32 v[2:3], null, s12, v39, 0
	s_delay_alu instid0(VALU_DEP_3) | instskip(SKIP_1) | instid1(VALU_DEP_1)
	v_lshrrev_b16 v16, 1, v16
	s_mul_u64 s[2:3], s[12:13], 0x188
	v_and_b32_e32 v16, 0x7f, v16
	s_delay_alu instid0(VALU_DEP_3) | instskip(NEXT) | instid1(VALU_DEP_2)
	v_mad_co_u64_u32 v[4:5], null, s15, v24, v[1:2]
	v_add_nc_u16 v15, v16, v15
	s_delay_alu instid0(VALU_DEP_2) | instskip(SKIP_1) | instid1(VALU_DEP_3)
	v_mad_co_u64_u32 v[5:6], null, s13, v39, v[3:4]
	v_mov_b32_e32 v1, v4
	v_lshrrev_b16 v19, 2, v15
	s_delay_alu instid0(VALU_DEP_2) | instskip(NEXT) | instid1(VALU_DEP_4)
	v_lshlrev_b64_e32 v[0:1], 3, v[0:1]
	v_mov_b32_e32 v3, v5
	s_delay_alu instid0(VALU_DEP_2) | instskip(NEXT) | instid1(VALU_DEP_2)
	v_add_co_u32 v0, vcc_lo, s18, v0
	v_lshlrev_b64_e32 v[2:3], 3, v[2:3]
	s_delay_alu instid0(VALU_DEP_4) | instskip(NEXT) | instid1(VALU_DEP_2)
	v_add_co_ci_u32_e32 v1, vcc_lo, s19, v1, vcc_lo
	v_add_co_u32 v0, vcc_lo, v0, v2
	s_wait_alu 0xfffd
	s_delay_alu instid0(VALU_DEP_2) | instskip(NEXT) | instid1(VALU_DEP_2)
	v_add_co_ci_u32_e32 v1, vcc_lo, v1, v3, vcc_lo
	v_add_co_u32 v2, vcc_lo, v0, s2
	s_wait_alu 0xfffd
	s_delay_alu instid0(VALU_DEP_2)
	v_add_co_ci_u32_e32 v3, vcc_lo, s3, v1, vcc_lo
	global_load_b64 v[0:1], v[0:1], off
	v_add_co_u32 v4, vcc_lo, v2, s2
	s_wait_alu 0xfffd
	v_add_co_ci_u32_e32 v5, vcc_lo, s3, v3, vcc_lo
	global_load_b64 v[2:3], v[2:3], off
	v_add_co_u32 v6, vcc_lo, v4, s2
	s_wait_alu 0xfffd
	v_add_co_ci_u32_e32 v7, vcc_lo, s3, v5, vcc_lo
	s_delay_alu instid0(VALU_DEP_2) | instskip(SKIP_1) | instid1(VALU_DEP_2)
	v_add_co_u32 v8, vcc_lo, v6, s2
	s_wait_alu 0xfffd
	v_add_co_ci_u32_e32 v9, vcc_lo, s3, v7, vcc_lo
	s_delay_alu instid0(VALU_DEP_2) | instskip(SKIP_1) | instid1(VALU_DEP_2)
	v_add_co_u32 v10, vcc_lo, v8, s2
	s_wait_alu 0xfffd
	v_add_co_ci_u32_e32 v11, vcc_lo, s3, v9, vcc_lo
	s_delay_alu instid0(VALU_DEP_2) | instskip(SKIP_1) | instid1(VALU_DEP_2)
	v_add_co_u32 v12, vcc_lo, v10, s2
	s_wait_alu 0xfffd
	v_add_co_ci_u32_e32 v13, vcc_lo, s3, v11, vcc_lo
	s_add_nc_u64 s[2:3], s[8:9], 0xab8
	s_wait_loadcnt 0x0
	v_dual_mul_f32 v17, v0, v26 :: v_dual_mul_f32 v16, v3, v28
	v_lshlrev_b32_e32 v43, 3, v14
	v_mul_f32_e32 v14, v1, v26
	global_load_b64 v[33:34], v41, s[8:9] offset:1568
	s_clause 0x1
	global_load_b64 v[4:5], v[4:5], off
	global_load_b64 v[6:7], v[6:7], off
	v_fmac_f32_e32 v16, v2, v27
	global_load_b64 v[8:9], v[8:9], off
	global_load_b64 v[10:11], v[10:11], off
	s_clause 0x1
	global_load_b64 v[35:36], v41, s[8:9] offset:1960
	global_load_b64 v[37:38], v41, s[8:9] offset:2352
	global_load_b64 v[12:13], v[12:13], off
	v_add_nc_u32_e32 v40, v41, v43
	v_mul_f32_e32 v20, v2, v28
	v_fmac_f32_e32 v14, v0, v25
	v_fma_f32 v15, v1, v25, -v17
	s_load_b128 s[4:7], s[6:7], 0x0
	s_delay_alu instid0(VALU_DEP_3)
	v_fma_f32 v17, v3, v27, -v20
	s_wait_loadcnt 0x5
	v_dual_mul_f32 v0, v5, v30 :: v_dual_mul_f32 v3, v6, v32
	v_dual_mul_f32 v1, v4, v30 :: v_dual_mul_f32 v2, v7, v32
	s_wait_loadcnt 0x0
	v_mul_f32_e32 v20, v12, v38
	s_delay_alu instid0(VALU_DEP_3)
	v_fmac_f32_e32 v0, v4, v29
	v_mul_f32_e32 v4, v9, v34
	v_fma_f32 v1, v5, v29, -v1
	v_dual_fmac_f32 v2, v6, v31 :: v_dual_mul_f32 v5, v8, v34
	v_mul_f32_e32 v6, v11, v36
	v_fma_f32 v3, v7, v31, -v3
	v_dual_mul_f32 v7, v10, v36 :: v_dual_fmac_f32 v4, v8, v33
	v_mul_f32_e32 v8, v13, v38
	s_delay_alu instid0(VALU_DEP_4)
	v_fmac_f32_e32 v6, v10, v35
	v_mul_lo_u16 v10, v19, 7
	v_fma_f32 v5, v9, v33, -v5
	v_fma_f32 v7, v11, v35, -v7
	v_fmac_f32_e32 v8, v12, v37
	v_fma_f32 v9, v13, v37, -v20
	ds_store_2addr_b64 v40, v[14:15], v[16:17] offset1:49
	ds_store_2addr_b64 v40, v[0:1], v[2:3] offset0:98 offset1:147
	ds_store_2addr_b64 v40, v[4:5], v[6:7] offset0:196 offset1:245
	ds_store_b64 v40, v[8:9] offset:2352
	global_wb scope:SCOPE_SE
	s_wait_dscnt 0x0
	s_wait_kmcnt 0x0
	s_barrier_signal -1
	s_barrier_wait -1
	global_inv scope:SCOPE_SE
	ds_load_2addr_b64 v[0:3], v40 offset1:49
	ds_load_b64 v[12:13], v40 offset:2352
	v_sub_nc_u16 v14, v18, v10
	ds_load_2addr_b64 v[4:7], v40 offset0:98 offset1:147
	ds_load_2addr_b64 v[8:11], v40 offset0:196 offset1:245
	v_mul_lo_u16 v15, v18, 7
	global_wb scope:SCOPE_SE
	s_wait_dscnt 0x0
	s_barrier_signal -1
	v_and_b32_e32 v46, 0xff, v14
	s_barrier_wait -1
	v_and_b32_e32 v14, 0xffff, v15
	global_inv scope:SCOPE_SE
	v_mul_u32_u24_e32 v15, 6, v46
	v_lshl_add_u32 v42, v14, 3, v43
	v_add_f32_e32 v16, v3, v13
	v_sub_f32_e32 v3, v3, v13
	v_add_f32_e32 v13, v5, v11
	v_sub_f32_e32 v5, v5, v11
	;; [unrolled: 2-line block ×3, first 2 shown]
	v_dual_add_f32 v15, v2, v12 :: v_dual_lshlrev_b32 v14, 3, v15
	v_sub_f32_e32 v2, v2, v12
	s_delay_alu instid0(VALU_DEP_3) | instskip(SKIP_4) | instid1(VALU_DEP_4)
	v_dual_add_f32 v12, v4, v10 :: v_dual_sub_f32 v23, v7, v5
	v_add_f32_e32 v21, v7, v5
	v_sub_f32_e32 v5, v5, v3
	v_dual_add_f32 v9, v13, v16 :: v_dual_sub_f32 v4, v4, v10
	v_dual_sub_f32 v7, v3, v7 :: v_dual_add_f32 v10, v6, v8
	v_dual_sub_f32 v6, v8, v6 :: v_dual_add_f32 v3, v21, v3
	v_dual_sub_f32 v18, v13, v16 :: v_dual_mul_f32 v21, 0xbf08b237, v23
	v_dual_sub_f32 v16, v16, v11 :: v_dual_sub_f32 v13, v11, v13
	v_dual_add_f32 v9, v11, v9 :: v_dual_add_f32 v8, v12, v15
	s_delay_alu instid0(VALU_DEP_4) | instskip(NEXT) | instid1(VALU_DEP_3)
	v_add_f32_e32 v20, v6, v4
	v_mul_f32_e32 v11, 0x3f4a47b2, v16
	s_delay_alu instid0(VALU_DEP_4) | instskip(NEXT) | instid1(VALU_DEP_4)
	v_mul_f32_e32 v16, 0x3d64c772, v13
	v_add_f32_e32 v1, v9, v1
	v_sub_f32_e32 v17, v12, v15
	v_dual_sub_f32 v15, v15, v10 :: v_dual_sub_f32 v12, v10, v12
	v_dual_mul_f32 v23, 0xbf5ff5aa, v5 :: v_dual_sub_f32 v22, v6, v4
	v_dual_fmamk_f32 v13, v13, 0x3d64c772, v11 :: v_dual_add_f32 v8, v10, v8
	v_fma_f32 v16, 0x3f3bfb3b, v18, -v16
	v_fma_f32 v11, 0xbf3bfb3b, v18, -v11
	v_fmamk_f32 v18, v7, 0x3eae86e6, v21
	v_fma_f32 v21, 0x3f5ff5aa, v5, -v21
	v_dual_mov_b32 v5, v1 :: v_dual_sub_f32 v6, v2, v6
	v_dual_fmac_f32 v23, 0xbeae86e6, v7 :: v_dual_sub_f32 v4, v4, v2
	s_delay_alu instid0(VALU_DEP_2)
	v_dual_add_f32 v2, v20, v2 :: v_dual_fmac_f32 v5, 0xbf955555, v9
	v_mul_f32_e32 v10, 0x3f4a47b2, v15
	v_mul_f32_e32 v15, 0x3d64c772, v12
	;; [unrolled: 1-line block ×3, first 2 shown]
	v_fmac_f32_e32 v23, 0x3ee1c552, v3
	v_add_f32_e32 v11, v11, v5
	v_dual_add_f32 v13, v13, v5 :: v_dual_fmamk_f32 v12, v12, 0x3d64c772, v10
	v_fma_f32 v15, 0x3f3bfb3b, v17, -v15
	v_fma_f32 v10, 0xbf3bfb3b, v17, -v10
	v_fmamk_f32 v17, v6, 0x3eae86e6, v20
	v_dual_mul_f32 v22, 0xbf5ff5aa, v4 :: v_dual_add_f32 v9, v16, v5
	v_add_f32_e32 v0, v8, v0
	v_fma_f32 v20, 0x3f5ff5aa, v4, -v20
	s_delay_alu instid0(VALU_DEP_4) | instskip(NEXT) | instid1(VALU_DEP_3)
	v_fmac_f32_e32 v17, 0x3ee1c552, v2
	v_dual_fmac_f32 v21, 0x3ee1c552, v3 :: v_dual_mov_b32 v4, v0
	s_delay_alu instid0(VALU_DEP_3) | instskip(NEXT) | instid1(VALU_DEP_1)
	v_fmac_f32_e32 v20, 0x3ee1c552, v2
	v_dual_fmac_f32 v22, 0xbeae86e6, v6 :: v_dual_add_f32 v7, v20, v9
	s_delay_alu instid0(VALU_DEP_1) | instskip(NEXT) | instid1(VALU_DEP_4)
	v_dual_sub_f32 v9, v9, v20 :: v_dual_fmac_f32 v22, 0x3ee1c552, v2
	v_fmac_f32_e32 v4, 0xbf955555, v8
	v_dual_fmac_f32 v18, 0x3ee1c552, v3 :: v_dual_sub_f32 v3, v13, v17
	v_add_f32_e32 v13, v17, v13
	s_delay_alu instid0(VALU_DEP_4) | instskip(NEXT) | instid1(VALU_DEP_4)
	v_sub_f32_e32 v5, v11, v22
	v_dual_add_f32 v11, v22, v11 :: v_dual_add_f32 v12, v12, v4
	v_add_f32_e32 v10, v10, v4
	v_add_f32_e32 v8, v15, v4
	s_delay_alu instid0(VALU_DEP_3) | instskip(NEXT) | instid1(VALU_DEP_3)
	v_add_f32_e32 v2, v12, v18
	v_add_f32_e32 v4, v23, v10
	s_delay_alu instid0(VALU_DEP_3)
	v_sub_f32_e32 v6, v8, v21
	v_add_f32_e32 v8, v21, v8
	v_sub_f32_e32 v10, v10, v23
	v_sub_f32_e32 v12, v12, v18
	ds_store_b64 v42, v[0:1]
	ds_store_2addr_b64 v42, v[2:3], v[4:5] offset0:1 offset1:2
	ds_store_2addr_b64 v42, v[6:7], v[8:9] offset0:3 offset1:4
	;; [unrolled: 1-line block ×3, first 2 shown]
	global_wb scope:SCOPE_SE
	s_wait_dscnt 0x0
	s_barrier_signal -1
	s_barrier_wait -1
	global_inv scope:SCOPE_SE
	s_clause 0x2
	global_load_b128 v[8:11], v14, s[10:11]
	global_load_b128 v[4:7], v14, s[10:11] offset:16
	global_load_b128 v[0:3], v14, s[10:11] offset:32
	v_and_b32_e32 v20, 0xffff, v19
	ds_load_2addr_b64 v[12:15], v40 offset1:49
	ds_load_2addr_b64 v[16:19], v40 offset0:98 offset1:147
	s_wait_loadcnt_dscnt 0x200
	v_mul_f32_e32 v51, v16, v11
	v_mul_f32_e32 v49, v14, v9
	s_wait_loadcnt 0x1
	v_mul_f32_e32 v53, v18, v5
	s_delay_alu instid0(VALU_DEP_3)
	v_fmac_f32_e32 v51, v17, v10
	v_mul_u32_u24_e32 v47, 49, v20
	ds_load_2addr_b64 v[20:23], v40 offset0:196 offset1:245
	ds_load_b64 v[44:45], v40 offset:2352
	v_fmac_f32_e32 v49, v15, v8
	v_fmac_f32_e32 v53, v19, v4
	global_wb scope:SCOPE_SE
	s_wait_loadcnt_dscnt 0x0
	s_barrier_signal -1
	s_barrier_wait -1
	global_inv scope:SCOPE_SE
	v_mul_f32_e32 v57, v22, v1
	v_dual_mul_f32 v59, v44, v3 :: v_dual_mul_f32 v52, v19, v5
	v_dual_mul_f32 v55, v20, v7 :: v_dual_mul_f32 v56, v23, v1
	s_delay_alu instid0(VALU_DEP_3) | instskip(NEXT) | instid1(VALU_DEP_3)
	v_fmac_f32_e32 v57, v23, v0
	v_fmac_f32_e32 v59, v45, v2
	v_add_nc_u32_e32 v48, v47, v46
	v_mul_f32_e32 v50, v17, v11
	v_fmac_f32_e32 v55, v21, v6
	v_mul_f32_e32 v54, v21, v7
	v_add_f32_e32 v21, v49, v59
	v_lshl_add_u32 v43, v48, 3, v43
	v_mul_f32_e32 v48, v15, v9
	v_dual_add_f32 v23, v51, v57 :: v_dual_mul_f32 v58, v45, v3
	v_fma_f32 v15, v16, v10, -v50
	v_fma_f32 v16, v18, v4, -v52
	;; [unrolled: 1-line block ×5, first 2 shown]
	v_add_f32_e32 v45, v53, v55
	v_fma_f32 v14, v14, v8, -v48
	v_add_f32_e32 v44, v16, v17
	v_add_f32_e32 v22, v15, v19
	v_sub_f32_e32 v15, v15, v19
	s_delay_alu instid0(VALU_DEP_4)
	v_dual_sub_f32 v19, v51, v57 :: v_dual_add_f32 v20, v14, v18
	v_dual_sub_f32 v14, v14, v18 :: v_dual_sub_f32 v51, v23, v21
	v_sub_f32_e32 v18, v49, v59
	v_dual_sub_f32 v16, v17, v16 :: v_dual_sub_f32 v17, v55, v53
	v_add_f32_e32 v49, v23, v21
	v_dual_sub_f32 v21, v21, v45 :: v_dual_add_f32 v48, v22, v20
	s_delay_alu instid0(VALU_DEP_3)
	v_dual_sub_f32 v50, v22, v20 :: v_dual_sub_f32 v55, v17, v19
	v_sub_f32_e32 v23, v45, v23
	v_dual_add_f32 v53, v17, v19 :: v_dual_sub_f32 v22, v44, v22
	v_dual_add_f32 v45, v45, v49 :: v_dual_add_f32 v52, v16, v15
	v_dual_mul_f32 v21, 0x3f4a47b2, v21 :: v_dual_sub_f32 v54, v16, v15
	v_sub_f32_e32 v15, v15, v14
	s_delay_alu instid0(VALU_DEP_3)
	v_dual_add_f32 v13, v45, v13 :: v_dual_sub_f32 v20, v20, v44
	v_sub_f32_e32 v19, v19, v18
	v_sub_f32_e32 v17, v18, v17
	v_dual_sub_f32 v16, v14, v16 :: v_dual_mul_f32 v49, 0x3d64c772, v23
	v_add_f32_e32 v44, v44, v48
	v_dual_add_f32 v18, v53, v18 :: v_dual_fmamk_f32 v23, v23, 0x3d64c772, v21
	v_mul_f32_e32 v53, 0xbf08b237, v55
	s_delay_alu instid0(VALU_DEP_4) | instskip(NEXT) | instid1(VALU_DEP_4)
	v_fma_f32 v49, 0x3f3bfb3b, v51, -v49
	v_add_f32_e32 v12, v44, v12
	v_fma_f32 v21, 0xbf3bfb3b, v51, -v21
	v_dual_add_f32 v14, v52, v14 :: v_dual_mul_f32 v55, 0xbf5ff5aa, v19
	v_fmamk_f32 v51, v17, 0x3eae86e6, v53
	v_mul_f32_e32 v20, 0x3f4a47b2, v20
	v_mul_f32_e32 v48, 0x3d64c772, v22
	v_fma_f32 v53, 0x3f5ff5aa, v19, -v53
	v_fmac_f32_e32 v55, 0xbeae86e6, v17
	v_fmac_f32_e32 v51, 0x3ee1c552, v18
	v_fmamk_f32 v22, v22, 0x3d64c772, v20
	v_fma_f32 v20, 0xbf3bfb3b, v50, -v20
	v_mul_f32_e32 v52, 0xbf08b237, v54
	v_mul_f32_e32 v54, 0xbf5ff5aa, v15
	v_fma_f32 v48, 0x3f3bfb3b, v50, -v48
	v_mad_co_u64_u32 v[46:47], null, v39, 48, s[10:11]
	s_delay_alu instid0(VALU_DEP_4) | instskip(SKIP_2) | instid1(VALU_DEP_1)
	v_fmamk_f32 v50, v16, 0x3eae86e6, v52
	v_fma_f32 v52, 0x3f5ff5aa, v15, -v52
	v_dual_fmac_f32 v54, 0xbeae86e6, v16 :: v_dual_mov_b32 v15, v12
	v_dual_mov_b32 v16, v13 :: v_dual_fmac_f32 v15, 0xbf955555, v44
	s_delay_alu instid0(VALU_DEP_1) | instskip(SKIP_1) | instid1(VALU_DEP_3)
	v_fmac_f32_e32 v16, 0xbf955555, v45
	v_fmac_f32_e32 v53, 0x3ee1c552, v18
	v_dual_fmac_f32 v55, 0x3ee1c552, v18 :: v_dual_add_f32 v44, v22, v15
	s_delay_alu instid0(VALU_DEP_3) | instskip(SKIP_3) | instid1(VALU_DEP_4)
	v_dual_add_f32 v22, v48, v15 :: v_dual_add_f32 v45, v23, v16
	v_fmac_f32_e32 v52, 0x3ee1c552, v14
	v_add_f32_e32 v48, v21, v16
	v_dual_add_f32 v21, v49, v16 :: v_dual_fmac_f32 v54, 0x3ee1c552, v14
	v_dual_add_f32 v23, v20, v15 :: v_dual_sub_f32 v18, v22, v53
	s_delay_alu instid0(VALU_DEP_2) | instskip(SKIP_1) | instid1(VALU_DEP_4)
	v_dual_add_f32 v20, v53, v22 :: v_dual_add_f32 v19, v52, v21
	v_dual_sub_f32 v21, v21, v52 :: v_dual_fmac_f32 v50, 0x3ee1c552, v14
	v_dual_add_f32 v14, v51, v44 :: v_dual_sub_f32 v17, v48, v54
	s_delay_alu instid0(VALU_DEP_4) | instskip(SKIP_1) | instid1(VALU_DEP_4)
	v_add_f32_e32 v16, v55, v23
	v_dual_sub_f32 v22, v23, v55 :: v_dual_add_f32 v23, v54, v48
	v_dual_sub_f32 v15, v45, v50 :: v_dual_sub_f32 v44, v44, v51
	v_add_f32_e32 v45, v50, v45
	ds_store_2addr_b64 v43, v[12:13], v[14:15] offset1:7
	ds_store_2addr_b64 v43, v[16:17], v[18:19] offset0:14 offset1:21
	ds_store_2addr_b64 v43, v[20:21], v[22:23] offset0:28 offset1:35
	ds_store_b64 v43, v[44:45] offset:336
	global_wb scope:SCOPE_SE
	s_wait_dscnt 0x0
	s_barrier_signal -1
	s_barrier_wait -1
	global_inv scope:SCOPE_SE
	s_clause 0x2
	global_load_b128 v[20:23], v[46:47], off offset:336
	global_load_b128 v[16:19], v[46:47], off offset:352
	;; [unrolled: 1-line block ×3, first 2 shown]
	ds_load_2addr_b64 v[44:47], v40 offset1:49
	ds_load_2addr_b64 v[48:51], v40 offset0:98 offset1:147
	ds_load_2addr_b64 v[52:55], v40 offset0:196 offset1:245
	ds_load_b64 v[56:57], v40 offset:2352
	s_wait_loadcnt_dscnt 0x203
	v_mul_f32_e32 v58, v47, v21
	v_mul_f32_e32 v59, v46, v21
	s_wait_loadcnt_dscnt 0x0
	v_mul_f32_e32 v69, v56, v15
	v_dual_mul_f32 v61, v48, v23 :: v_dual_mul_f32 v62, v51, v17
	v_dual_mul_f32 v63, v50, v17 :: v_dual_mul_f32 v60, v49, v23
	;; [unrolled: 1-line block ×3, first 2 shown]
	s_delay_alu instid0(VALU_DEP_4) | instskip(SKIP_4) | instid1(VALU_DEP_4)
	v_fmac_f32_e32 v69, v57, v14
	v_mul_f32_e32 v67, v54, v13
	v_dual_fmac_f32 v59, v47, v20 :: v_dual_mul_f32 v68, v57, v15
	v_mul_f32_e32 v64, v53, v19
	v_fma_f32 v46, v46, v20, -v58
	v_fmac_f32_e32 v67, v55, v12
	v_fmac_f32_e32 v61, v49, v22
	;; [unrolled: 1-line block ×3, first 2 shown]
	v_fma_f32 v47, v48, v22, -v60
	v_fma_f32 v48, v50, v16, -v62
	v_fmac_f32_e32 v65, v53, v18
	v_fma_f32 v51, v54, v12, -v66
	v_add_f32_e32 v53, v59, v69
	v_fma_f32 v50, v56, v14, -v68
	v_fma_f32 v49, v52, v18, -v64
	s_delay_alu instid0(VALU_DEP_2)
	v_dual_add_f32 v55, v61, v67 :: v_dual_add_f32 v52, v46, v50
	v_sub_f32_e32 v46, v46, v50
	v_sub_f32_e32 v50, v59, v69
	v_add_f32_e32 v57, v63, v65
	v_add_f32_e32 v54, v47, v51
	v_sub_f32_e32 v47, v47, v51
	v_dual_sub_f32 v51, v61, v67 :: v_dual_add_f32 v56, v48, v49
	v_dual_sub_f32 v48, v49, v48 :: v_dual_add_f32 v59, v55, v53
	v_sub_f32_e32 v61, v55, v53
	v_sub_f32_e32 v53, v53, v57
	v_dual_sub_f32 v49, v65, v63 :: v_dual_add_f32 v58, v54, v52
	v_sub_f32_e32 v60, v54, v52
	v_sub_f32_e32 v52, v52, v56
	v_dual_sub_f32 v54, v56, v54 :: v_dual_sub_f32 v55, v57, v55
	v_add_f32_e32 v62, v48, v47
	v_add_f32_e32 v63, v49, v51
	v_dual_sub_f32 v64, v48, v47 :: v_dual_sub_f32 v47, v47, v46
	v_dual_sub_f32 v65, v49, v51 :: v_dual_add_f32 v56, v56, v58
	v_sub_f32_e32 v49, v50, v49
	v_dual_sub_f32 v51, v51, v50 :: v_dual_mul_f32 v52, 0x3f4a47b2, v52
	v_dual_add_f32 v57, v57, v59 :: v_dual_sub_f32 v48, v46, v48
	v_add_f32_e32 v46, v62, v46
	v_dual_add_f32 v50, v63, v50 :: v_dual_mul_f32 v53, 0x3f4a47b2, v53
	v_dual_mul_f32 v58, 0x3d64c772, v54 :: v_dual_mul_f32 v59, 0x3d64c772, v55
	v_dual_mul_f32 v62, 0xbf08b237, v64 :: v_dual_mul_f32 v63, 0xbf08b237, v65
	v_dual_mul_f32 v64, 0xbf5ff5aa, v47 :: v_dual_add_f32 v45, v57, v45
	v_dual_mul_f32 v65, 0xbf5ff5aa, v51 :: v_dual_add_f32 v44, v56, v44
	v_dual_fmamk_f32 v54, v54, 0x3d64c772, v52 :: v_dual_fmamk_f32 v55, v55, 0x3d64c772, v53
	v_fma_f32 v58, 0x3f3bfb3b, v60, -v58
	v_fma_f32 v52, 0xbf3bfb3b, v60, -v52
	v_fmamk_f32 v60, v48, 0x3eae86e6, v62
	v_fma_f32 v62, 0x3f5ff5aa, v47, -v62
	v_dual_fmac_f32 v64, 0xbeae86e6, v48 :: v_dual_fmac_f32 v65, 0xbeae86e6, v49
	v_dual_mov_b32 v47, v44 :: v_dual_mov_b32 v48, v45
	v_fma_f32 v59, 0x3f3bfb3b, v61, -v59
	v_fma_f32 v53, 0xbf3bfb3b, v61, -v53
	v_fmamk_f32 v61, v49, 0x3eae86e6, v63
	s_delay_alu instid0(VALU_DEP_4) | instskip(SKIP_2) | instid1(VALU_DEP_3)
	v_dual_fmac_f32 v47, 0xbf955555, v56 :: v_dual_fmac_f32 v48, 0xbf955555, v57
	v_fma_f32 v63, 0x3f5ff5aa, v51, -v63
	v_fmac_f32_e32 v60, 0x3ee1c552, v46
	v_dual_fmac_f32 v61, 0x3ee1c552, v50 :: v_dual_add_f32 v56, v54, v47
	s_delay_alu instid0(VALU_DEP_4)
	v_dual_add_f32 v57, v55, v48 :: v_dual_fmac_f32 v62, 0x3ee1c552, v46
	v_add_f32_e32 v55, v52, v47
	v_dual_fmac_f32 v63, 0x3ee1c552, v50 :: v_dual_add_f32 v54, v58, v47
	v_fmac_f32_e32 v64, 0x3ee1c552, v46
	v_dual_fmac_f32 v65, 0x3ee1c552, v50 :: v_dual_add_f32 v58, v53, v48
	v_add_f32_e32 v53, v59, v48
	v_add_f32_e32 v46, v61, v56
	v_dual_sub_f32 v47, v57, v60 :: v_dual_sub_f32 v50, v54, v63
	s_delay_alu instid0(VALU_DEP_4) | instskip(NEXT) | instid1(VALU_DEP_4)
	v_dual_add_f32 v48, v65, v55 :: v_dual_sub_f32 v49, v58, v64
	v_dual_add_f32 v51, v62, v53 :: v_dual_add_f32 v52, v63, v54
	v_add_f32_e32 v57, v60, v57
	v_dual_sub_f32 v53, v53, v62 :: v_dual_sub_f32 v54, v55, v65
	v_add_f32_e32 v55, v64, v58
	v_sub_f32_e32 v56, v56, v61
	ds_store_2addr_b64 v40, v[44:45], v[46:47] offset1:49
	ds_store_2addr_b64 v40, v[48:49], v[50:51] offset0:98 offset1:147
	ds_store_2addr_b64 v40, v[52:53], v[54:55] offset0:196 offset1:245
	ds_store_b64 v40, v[56:57] offset:2352
	global_wb scope:SCOPE_SE
	s_wait_dscnt 0x0
	s_barrier_signal -1
	s_barrier_wait -1
	global_inv scope:SCOPE_SE
	s_clause 0x6
	global_load_b64 v[56:57], v41, s[8:9] offset:2744
	global_load_b64 v[58:59], v41, s[2:3] offset:392
	;; [unrolled: 1-line block ×7, first 2 shown]
	ds_load_2addr_b64 v[44:47], v40 offset1:49
	ds_load_2addr_b64 v[48:51], v40 offset0:98 offset1:147
	ds_load_2addr_b64 v[52:55], v40 offset0:196 offset1:245
	ds_load_b64 v[70:71], v40 offset:2352
	s_mov_b32 s2, 0x515a4f1d
	s_mov_b32 s3, 0x3f67e225
	s_wait_loadcnt_dscnt 0x603
	v_mul_f32_e32 v41, v45, v57
	s_wait_loadcnt 0x5
	v_dual_mul_f32 v73, v44, v57 :: v_dual_mul_f32 v74, v47, v59
	v_mul_f32_e32 v57, v46, v59
	s_wait_loadcnt_dscnt 0x402
	v_mul_f32_e32 v75, v49, v61
	s_wait_loadcnt 0x3
	v_dual_mul_f32 v59, v48, v61 :: v_dual_mul_f32 v76, v51, v63
	v_mul_f32_e32 v61, v50, v63
	;; [unrolled: 5-line block ×3, first 2 shown]
	s_wait_loadcnt_dscnt 0x0
	v_mul_f32_e32 v79, v71, v69
	v_mul_f32_e32 v67, v70, v69
	v_fma_f32 v72, v44, v56, -v41
	v_fmac_f32_e32 v73, v45, v56
	v_fma_f32 v56, v46, v58, -v74
	v_fmac_f32_e32 v57, v47, v58
	v_fma_f32 v58, v48, v60, -v75
	v_fmac_f32_e32 v59, v49, v60
	v_fma_f32 v60, v50, v62, -v76
	v_fmac_f32_e32 v61, v51, v62
	v_fma_f32 v62, v52, v64, -v77
	v_fmac_f32_e32 v63, v53, v64
	v_fma_f32 v64, v54, v66, -v78
	v_fmac_f32_e32 v65, v55, v66
	v_fma_f32 v66, v70, v68, -v79
	v_fmac_f32_e32 v67, v71, v68
	ds_store_2addr_b64 v40, v[72:73], v[56:57] offset1:49
	ds_store_2addr_b64 v40, v[58:59], v[60:61] offset0:98 offset1:147
	ds_store_2addr_b64 v40, v[62:63], v[64:65] offset0:196 offset1:245
	ds_store_b64 v40, v[66:67] offset:2352
	global_wb scope:SCOPE_SE
	s_wait_dscnt 0x0
	s_barrier_signal -1
	s_barrier_wait -1
	global_inv scope:SCOPE_SE
	ds_load_2addr_b64 v[44:47], v40 offset1:49
	ds_load_b64 v[56:57], v40 offset:2352
	ds_load_2addr_b64 v[48:51], v40 offset0:98 offset1:147
	ds_load_2addr_b64 v[52:55], v40 offset0:196 offset1:245
	global_wb scope:SCOPE_SE
	s_wait_dscnt 0x0
	s_barrier_signal -1
	s_barrier_wait -1
	global_inv scope:SCOPE_SE
	v_add_f32_e32 v41, v46, v56
	v_sub_f32_e32 v46, v46, v56
	v_add_f32_e32 v56, v48, v54
	v_sub_f32_e32 v48, v48, v54
	;; [unrolled: 2-line block ×6, first 2 shown]
	v_sub_f32_e32 v50, v46, v50
	v_sub_f32_e32 v48, v48, v46
	;; [unrolled: 1-line block ×3, first 2 shown]
	v_add_f32_e32 v46, v61, v46
	v_add_f32_e32 v52, v56, v41
	v_sub_f32_e32 v59, v56, v41
	v_dual_sub_f32 v41, v41, v54 :: v_dual_sub_f32 v56, v54, v56
	s_delay_alu instid0(VALU_DEP_3) | instskip(SKIP_1) | instid1(VALU_DEP_3)
	v_dual_add_f32 v52, v54, v52 :: v_dual_add_f32 v55, v51, v53
	v_sub_f32_e32 v51, v53, v51
	v_mul_f32_e32 v41, 0x3f4a47b2, v41
	s_delay_alu instid0(VALU_DEP_3) | instskip(NEXT) | instid1(VALU_DEP_4)
	v_dual_add_f32 v53, v57, v58 :: v_dual_add_f32 v44, v52, v44
	v_sub_f32_e32 v58, v58, v55
	s_delay_alu instid0(VALU_DEP_4) | instskip(SKIP_1) | instid1(VALU_DEP_3)
	v_add_f32_e32 v62, v51, v49
	v_sub_f32_e32 v64, v51, v49
	v_dual_mul_f32 v54, 0x3f4a47b2, v58 :: v_dual_sub_f32 v51, v47, v51
	v_sub_f32_e32 v49, v49, v47
	s_delay_alu instid0(VALU_DEP_3) | instskip(SKIP_3) | instid1(VALU_DEP_3)
	v_dual_add_f32 v47, v62, v47 :: v_dual_mul_f32 v62, 0x3f08b237, v64
	v_sub_f32_e32 v57, v55, v57
	v_add_f32_e32 v53, v55, v53
	v_dual_mul_f32 v55, 0x3d64c772, v56 :: v_dual_fmamk_f32 v56, v56, 0x3d64c772, v41
	v_dual_mul_f32 v58, 0x3d64c772, v57 :: v_dual_fmamk_f32 v57, v57, 0x3d64c772, v54
	v_fma_f32 v54, 0xbf3bfb3b, v60, -v54
	s_delay_alu instid0(VALU_DEP_2) | instskip(SKIP_4) | instid1(VALU_DEP_3)
	v_fma_f32 v58, 0x3f3bfb3b, v60, -v58
	v_fmamk_f32 v60, v51, 0xbeae86e6, v62
	v_fma_f32 v62, 0xbf5ff5aa, v49, -v62
	v_fma_f32 v55, 0x3f3bfb3b, v59, -v55
	;; [unrolled: 1-line block ×3, first 2 shown]
	v_fmac_f32_e32 v62, 0xbee1c552, v47
	v_mul_f32_e32 v61, 0x3f08b237, v63
	v_mul_f32_e32 v63, 0x3f5ff5aa, v48
	s_delay_alu instid0(VALU_DEP_2) | instskip(SKIP_1) | instid1(VALU_DEP_3)
	v_fmamk_f32 v59, v50, 0xbeae86e6, v61
	v_fma_f32 v61, 0xbf5ff5aa, v48, -v61
	v_dual_mov_b32 v48, v44 :: v_dual_fmac_f32 v63, 0x3eae86e6, v50
	s_delay_alu instid0(VALU_DEP_2) | instskip(NEXT) | instid1(VALU_DEP_2)
	v_fmac_f32_e32 v61, 0xbee1c552, v46
	v_fmac_f32_e32 v48, 0xbf955555, v52
	s_delay_alu instid0(VALU_DEP_1) | instskip(SKIP_3) | instid1(VALU_DEP_3)
	v_dual_fmac_f32 v63, 0xbee1c552, v46 :: v_dual_add_f32 v56, v56, v48
	v_mul_f32_e32 v64, 0x3f5ff5aa, v49
	v_add_f32_e32 v52, v55, v48
	v_dual_fmac_f32 v60, 0xbee1c552, v47 :: v_dual_add_f32 v41, v41, v48
	v_fmac_f32_e32 v64, 0x3eae86e6, v51
	s_delay_alu instid0(VALU_DEP_3) | instskip(SKIP_1) | instid1(VALU_DEP_3)
	v_sub_f32_e32 v50, v52, v62
	v_add_f32_e32 v52, v62, v52
	v_dual_fmac_f32 v64, 0xbee1c552, v47 :: v_dual_add_f32 v45, v53, v45
	s_delay_alu instid0(VALU_DEP_1) | instskip(NEXT) | instid1(VALU_DEP_1)
	v_dual_add_f32 v48, v64, v41 :: v_dual_mov_b32 v49, v45
	v_fmac_f32_e32 v49, 0xbf955555, v53
	s_delay_alu instid0(VALU_DEP_1) | instskip(SKIP_3) | instid1(VALU_DEP_4)
	v_dual_add_f32 v55, v54, v49 :: v_dual_sub_f32 v54, v41, v64
	v_dual_fmac_f32 v59, 0xbee1c552, v46 :: v_dual_add_f32 v46, v56, v60
	v_dual_sub_f32 v56, v56, v60 :: v_dual_add_f32 v57, v57, v49
	v_add_f32_e32 v53, v58, v49
	v_sub_f32_e32 v49, v55, v63
	v_add_f32_e32 v55, v63, v55
	s_delay_alu instid0(VALU_DEP_4) | instskip(NEXT) | instid1(VALU_DEP_4)
	v_sub_f32_e32 v47, v57, v59
	v_add_f32_e32 v51, v61, v53
	v_sub_f32_e32 v53, v53, v61
	v_add_f32_e32 v57, v59, v57
	ds_store_b64 v42, v[44:45]
	ds_store_2addr_b64 v42, v[46:47], v[48:49] offset0:1 offset1:2
	ds_store_2addr_b64 v42, v[50:51], v[52:53] offset0:3 offset1:4
	;; [unrolled: 1-line block ×3, first 2 shown]
	global_wb scope:SCOPE_SE
	s_wait_dscnt 0x0
	s_barrier_signal -1
	s_barrier_wait -1
	global_inv scope:SCOPE_SE
	ds_load_2addr_b64 v[44:47], v40 offset1:49
	ds_load_2addr_b64 v[48:51], v40 offset0:98 offset1:147
	ds_load_2addr_b64 v[52:55], v40 offset0:196 offset1:245
	ds_load_b64 v[41:42], v40 offset:2352
	global_wb scope:SCOPE_SE
	s_wait_dscnt 0x0
	s_barrier_signal -1
	s_barrier_wait -1
	global_inv scope:SCOPE_SE
	v_dual_mul_f32 v56, v9, v47 :: v_dual_mul_f32 v57, v11, v49
	v_dual_mul_f32 v60, v1, v55 :: v_dual_mul_f32 v61, v3, v42
	v_mul_f32_e32 v59, v7, v53
	v_mul_f32_e32 v7, v7, v52
	;; [unrolled: 1-line block ×3, first 2 shown]
	v_dual_mul_f32 v3, v3, v41 :: v_dual_fmac_f32 v56, v8, v46
	v_fmac_f32_e32 v57, v10, v48
	v_dual_fmac_f32 v61, v2, v41 :: v_dual_fmac_f32 v60, v0, v54
	v_fmac_f32_e32 v59, v6, v52
	s_delay_alu instid0(VALU_DEP_4)
	v_fma_f32 v2, v2, v42, -v3
	v_fma_f32 v3, v6, v53, -v7
	;; [unrolled: 1-line block ×3, first 2 shown]
	v_add_f32_e32 v1, v56, v61
	v_dual_sub_f32 v6, v56, v61 :: v_dual_mul_f32 v11, v11, v48
	v_add_f32_e32 v7, v57, v60
	v_mul_f32_e32 v9, v9, v46
	v_mul_f32_e32 v58, v5, v51
	s_delay_alu instid0(VALU_DEP_3) | instskip(NEXT) | instid1(VALU_DEP_3)
	v_dual_mul_f32 v5, v5, v50 :: v_dual_sub_f32 v46, v7, v1
	v_fma_f32 v8, v8, v47, -v9
	v_fma_f32 v9, v10, v49, -v11
	s_delay_alu instid0(VALU_DEP_4) | instskip(NEXT) | instid1(VALU_DEP_4)
	v_fmac_f32_e32 v58, v4, v50
	v_fma_f32 v4, v4, v51, -v5
	s_delay_alu instid0(VALU_DEP_4) | instskip(SKIP_2) | instid1(VALU_DEP_4)
	v_dual_sub_f32 v10, v57, v60 :: v_dual_add_f32 v5, v8, v2
	v_sub_f32_e32 v2, v8, v2
	v_add_f32_e32 v8, v9, v0
	v_dual_sub_f32 v0, v9, v0 :: v_dual_add_f32 v11, v4, v3
	s_delay_alu instid0(VALU_DEP_2) | instskip(NEXT) | instid1(VALU_DEP_2)
	v_dual_sub_f32 v3, v3, v4 :: v_dual_add_f32 v42, v8, v5
	v_sub_f32_e32 v52, v0, v2
	v_sub_f32_e32 v47, v8, v5
	s_delay_alu instid0(VALU_DEP_3) | instskip(SKIP_4) | instid1(VALU_DEP_2)
	v_add_f32_e32 v49, v3, v0
	v_sub_f32_e32 v51, v3, v0
	v_sub_f32_e32 v3, v2, v3
	v_mul_f32_e32 v53, 0x3f5ff5aa, v52
	v_sub_f32_e32 v8, v11, v8
	v_dual_add_f32 v2, v49, v2 :: v_dual_fmac_f32 v53, 0x3eae86e6, v3
	s_delay_alu instid0(VALU_DEP_1) | instskip(SKIP_2) | instid1(VALU_DEP_1)
	v_fmac_f32_e32 v53, 0xbee1c552, v2
	v_sub_f32_e32 v41, v59, v58
	v_sub_f32_e32 v5, v5, v11
	v_dual_add_f32 v48, v41, v10 :: v_dual_mul_f32 v5, 0x3f4a47b2, v5
	v_dual_sub_f32 v50, v41, v10 :: v_dual_sub_f32 v41, v6, v41
	v_sub_f32_e32 v10, v10, v6
	s_delay_alu instid0(VALU_DEP_3)
	v_add_f32_e32 v6, v48, v6
	v_mul_f32_e32 v48, 0x3d64c772, v8
	v_fmamk_f32 v8, v8, 0x3d64c772, v5
	v_add_f32_e32 v4, v7, v1
	v_fma_f32 v5, 0xbf3bfb3b, v47, -v5
	v_add_f32_e32 v9, v58, v59
	v_dual_mul_f32 v49, 0x3f08b237, v50 :: v_dual_mul_f32 v50, 0x3f08b237, v51
	s_delay_alu instid0(VALU_DEP_2) | instskip(SKIP_1) | instid1(VALU_DEP_3)
	v_dual_mul_f32 v51, 0x3f5ff5aa, v10 :: v_dual_add_f32 v4, v9, v4
	v_sub_f32_e32 v7, v9, v7
	v_fma_f32 v10, 0xbf5ff5aa, v10, -v49
	s_delay_alu instid0(VALU_DEP_3) | instskip(SKIP_2) | instid1(VALU_DEP_4)
	v_dual_fmac_f32 v51, 0x3eae86e6, v41 :: v_dual_add_f32 v0, v4, v44
	v_fma_f32 v44, 0x3f3bfb3b, v47, -v48
	v_fma_f32 v47, 0xbf5ff5aa, v52, -v50
	v_fmac_f32_e32 v10, 0xbee1c552, v6
	s_delay_alu instid0(VALU_DEP_4) | instskip(NEXT) | instid1(VALU_DEP_3)
	v_fmac_f32_e32 v51, 0xbee1c552, v6
	v_fmac_f32_e32 v47, 0xbee1c552, v2
	v_sub_f32_e32 v1, v1, v9
	v_dual_add_f32 v9, v11, v42 :: v_dual_mul_f32 v42, 0x3d64c772, v7
	s_delay_alu instid0(VALU_DEP_2) | instskip(NEXT) | instid1(VALU_DEP_2)
	v_mul_f32_e32 v11, 0x3f4a47b2, v1
	v_add_f32_e32 v1, v9, v45
	s_delay_alu instid0(VALU_DEP_3) | instskip(SKIP_1) | instid1(VALU_DEP_4)
	v_fma_f32 v42, 0x3f3bfb3b, v46, -v42
	v_fmamk_f32 v45, v41, 0xbeae86e6, v49
	v_fmamk_f32 v7, v7, 0x3d64c772, v11
	v_fma_f32 v11, 0xbf3bfb3b, v46, -v11
	v_dual_fmamk_f32 v46, v3, 0xbeae86e6, v50 :: v_dual_mov_b32 v3, v0
	v_mov_b32_e32 v41, v1
	v_fmac_f32_e32 v45, 0xbee1c552, v6
	s_delay_alu instid0(VALU_DEP_3) | instskip(NEXT) | instid1(VALU_DEP_4)
	v_fmac_f32_e32 v46, 0xbee1c552, v2
	v_fmac_f32_e32 v3, 0xbf955555, v4
	s_delay_alu instid0(VALU_DEP_1) | instskip(NEXT) | instid1(VALU_DEP_1)
	v_dual_fmac_f32 v41, 0xbf955555, v9 :: v_dual_add_f32 v48, v7, v3
	v_dual_add_f32 v49, v8, v41 :: v_dual_add_f32 v8, v42, v3
	v_dual_add_f32 v11, v11, v3 :: v_dual_add_f32 v42, v5, v41
	s_delay_alu instid0(VALU_DEP_3) | instskip(NEXT) | instid1(VALU_DEP_3)
	v_dual_add_f32 v9, v44, v41 :: v_dual_add_f32 v2, v46, v48
	v_sub_f32_e32 v3, v49, v45
	s_delay_alu instid0(VALU_DEP_3) | instskip(NEXT) | instid1(VALU_DEP_4)
	v_add_f32_e32 v4, v53, v11
	v_sub_f32_e32 v5, v42, v51
	s_delay_alu instid0(VALU_DEP_4)
	v_dual_sub_f32 v6, v8, v47 :: v_dual_add_f32 v7, v10, v9
	v_dual_add_f32 v8, v47, v8 :: v_dual_sub_f32 v9, v9, v10
	v_sub_f32_e32 v10, v11, v53
	v_add_f32_e32 v11, v51, v42
	v_dual_sub_f32 v41, v48, v46 :: v_dual_add_f32 v42, v45, v49
	ds_store_2addr_b64 v43, v[0:1], v[2:3] offset1:7
	ds_store_2addr_b64 v43, v[4:5], v[6:7] offset0:14 offset1:21
	ds_store_2addr_b64 v43, v[8:9], v[10:11] offset0:28 offset1:35
	ds_store_b64 v43, v[41:42] offset:336
	global_wb scope:SCOPE_SE
	s_wait_dscnt 0x0
	s_barrier_signal -1
	s_barrier_wait -1
	global_inv scope:SCOPE_SE
	ds_load_2addr_b64 v[0:3], v40 offset1:49
	ds_load_2addr_b64 v[4:7], v40 offset0:98 offset1:147
	ds_load_2addr_b64 v[8:11], v40 offset0:196 offset1:245
	ds_load_b64 v[41:42], v40 offset:2352
	s_wait_dscnt 0x3
	v_mul_f32_e32 v43, v21, v3
	s_wait_dscnt 0x2
	v_dual_mul_f32 v21, v21, v2 :: v_dual_mul_f32 v44, v23, v5
	v_mul_f32_e32 v23, v23, v4
	v_mul_f32_e32 v45, v17, v7
	;; [unrolled: 1-line block ×3, first 2 shown]
	s_wait_dscnt 0x1
	v_mul_f32_e32 v47, v13, v11
	v_mul_f32_e32 v13, v13, v10
	s_wait_dscnt 0x0
	v_mul_f32_e32 v48, v15, v42
	v_mul_f32_e32 v15, v15, v41
	v_mul_f32_e32 v46, v19, v9
	v_mul_f32_e32 v19, v19, v8
	v_fmac_f32_e32 v43, v20, v2
	v_fma_f32 v2, v20, v3, -v21
	v_fmac_f32_e32 v44, v22, v4
	v_fma_f32 v3, v22, v5, -v23
	v_fma_f32 v4, v16, v7, -v17
	v_fmac_f32_e32 v48, v14, v41
	v_fma_f32 v5, v14, v42, -v15
	v_fmac_f32_e32 v47, v12, v10
	v_fma_f32 v7, v12, v11, -v13
	v_dual_fmac_f32 v45, v16, v6 :: v_dual_fmac_f32 v46, v18, v8
	v_fma_f32 v6, v18, v9, -v19
	v_dual_add_f32 v8, v43, v48 :: v_dual_add_f32 v9, v2, v5
	v_dual_sub_f32 v2, v2, v5 :: v_dual_add_f32 v5, v44, v47
	v_add_f32_e32 v11, v3, v7
	v_sub_f32_e32 v12, v44, v47
	v_sub_f32_e32 v3, v3, v7
	v_add_f32_e32 v7, v45, v46
	v_dual_add_f32 v13, v4, v6 :: v_dual_sub_f32 v14, v46, v45
	v_sub_f32_e32 v4, v6, v4
	v_dual_add_f32 v6, v5, v8 :: v_dual_add_f32 v15, v11, v9
	v_sub_f32_e32 v10, v43, v48
	v_dual_sub_f32 v16, v5, v8 :: v_dual_sub_f32 v17, v11, v9
	v_dual_sub_f32 v8, v8, v7 :: v_dual_sub_f32 v9, v9, v13
	v_sub_f32_e32 v5, v7, v5
	v_dual_sub_f32 v11, v13, v11 :: v_dual_add_f32 v18, v14, v12
	v_dual_add_f32 v19, v4, v3 :: v_dual_sub_f32 v20, v14, v12
	v_sub_f32_e32 v21, v4, v3
	v_sub_f32_e32 v3, v3, v2
	v_dual_add_f32 v6, v7, v6 :: v_dual_add_f32 v7, v13, v15
	v_sub_f32_e32 v14, v10, v14
	v_sub_f32_e32 v4, v2, v4
	;; [unrolled: 1-line block ×3, first 2 shown]
	v_add_f32_e32 v10, v18, v10
	v_add_f32_e32 v2, v19, v2
	v_dual_mul_f32 v8, 0x3f4a47b2, v8 :: v_dual_mul_f32 v9, 0x3f4a47b2, v9
	v_mul_f32_e32 v13, 0x3d64c772, v5
	v_mul_f32_e32 v15, 0x3d64c772, v11
	v_dual_mul_f32 v18, 0x3f08b237, v20 :: v_dual_mul_f32 v19, 0x3f08b237, v21
	v_dual_mul_f32 v21, 0x3f5ff5aa, v3 :: v_dual_add_f32 v0, v6, v0
	v_dual_add_f32 v1, v7, v1 :: v_dual_mul_f32 v20, 0x3f5ff5aa, v12
	v_fmamk_f32 v5, v5, 0x3d64c772, v8
	v_fmamk_f32 v11, v11, 0x3d64c772, v9
	v_fma_f32 v13, 0x3f3bfb3b, v16, -v13
	v_fma_f32 v15, 0x3f3bfb3b, v17, -v15
	;; [unrolled: 1-line block ×4, first 2 shown]
	v_dual_fmamk_f32 v16, v14, 0xbeae86e6, v18 :: v_dual_fmamk_f32 v17, v4, 0xbeae86e6, v19
	v_fma_f32 v12, 0xbf5ff5aa, v12, -v18
	v_fma_f32 v18, 0xbf5ff5aa, v3, -v19
	v_fmac_f32_e32 v21, 0x3eae86e6, v4
	v_dual_mov_b32 v3, v0 :: v_dual_mov_b32 v4, v1
	v_fmac_f32_e32 v20, 0x3eae86e6, v14
	v_fmac_f32_e32 v16, 0xbee1c552, v10
	;; [unrolled: 1-line block ×3, first 2 shown]
	s_delay_alu instid0(VALU_DEP_4) | instskip(SKIP_3) | instid1(VALU_DEP_4)
	v_dual_fmac_f32 v3, 0xbf955555, v6 :: v_dual_fmac_f32 v4, 0xbf955555, v7
	v_fmac_f32_e32 v12, 0xbee1c552, v10
	v_fmac_f32_e32 v18, 0xbee1c552, v2
	;; [unrolled: 1-line block ×3, first 2 shown]
	v_dual_add_f32 v14, v5, v3 :: v_dual_add_f32 v19, v11, v4
	v_dual_fmac_f32 v21, 0xbee1c552, v2 :: v_dual_add_f32 v10, v13, v3
	v_add_f32_e32 v11, v8, v3
	v_add_f32_e32 v13, v9, v4
	s_delay_alu instid0(VALU_DEP_4) | instskip(NEXT) | instid1(VALU_DEP_3)
	v_dual_add_f32 v9, v15, v4 :: v_dual_add_f32 v2, v17, v14
	v_dual_sub_f32 v3, v19, v16 :: v_dual_add_f32 v4, v21, v11
	s_delay_alu instid0(VALU_DEP_3) | instskip(NEXT) | instid1(VALU_DEP_3)
	v_dual_sub_f32 v5, v13, v20 :: v_dual_sub_f32 v6, v10, v18
	v_dual_add_f32 v7, v12, v9 :: v_dual_add_f32 v8, v18, v10
	v_dual_sub_f32 v9, v9, v12 :: v_dual_sub_f32 v10, v11, v21
	v_add_f32_e32 v11, v20, v13
	v_dual_sub_f32 v12, v14, v17 :: v_dual_add_f32 v13, v16, v19
	ds_store_2addr_b64 v40, v[0:1], v[2:3] offset1:49
	ds_store_2addr_b64 v40, v[4:5], v[6:7] offset0:98 offset1:147
	ds_store_2addr_b64 v40, v[8:9], v[10:11] offset0:196 offset1:245
	ds_store_b64 v40, v[12:13] offset:2352
	global_wb scope:SCOPE_SE
	s_wait_dscnt 0x0
	s_barrier_signal -1
	s_barrier_wait -1
	global_inv scope:SCOPE_SE
	ds_load_2addr_b64 v[0:3], v40 offset1:49
	ds_load_2addr_b64 v[4:7], v40 offset0:98 offset1:147
	ds_load_2addr_b64 v[8:11], v40 offset0:196 offset1:245
	ds_load_b64 v[12:13], v40 offset:2352
	s_wait_dscnt 0x3
	v_mul_f32_e32 v14, v26, v1
	v_dual_mul_f32 v15, v26, v0 :: v_dual_mul_f32 v16, v28, v3
	s_wait_dscnt 0x2
	v_dual_mul_f32 v17, v28, v2 :: v_dual_mul_f32 v18, v30, v5
	v_dual_mul_f32 v19, v30, v4 :: v_dual_mul_f32 v20, v32, v7
	s_wait_dscnt 0x1
	v_dual_mul_f32 v21, v32, v6 :: v_dual_mul_f32 v22, v34, v9
	v_dual_mul_f32 v23, v34, v8 :: v_dual_mul_f32 v26, v36, v11
	v_mul_f32_e32 v28, v36, v10
	v_fmac_f32_e32 v14, v25, v0
	v_fma_f32 v15, v25, v1, -v15
	s_wait_dscnt 0x0
	v_mul_f32_e32 v30, v38, v13
	v_mul_f32_e32 v32, v38, v12
	v_fmac_f32_e32 v16, v27, v2
	v_fma_f32 v17, v27, v3, -v17
	v_fmac_f32_e32 v18, v29, v4
	v_fma_f32 v19, v29, v5, -v19
	;; [unrolled: 2-line block ×5, first 2 shown]
	v_cvt_f64_f32_e32 v[0:1], v14
	v_cvt_f64_f32_e32 v[2:3], v15
	v_fmac_f32_e32 v30, v37, v12
	v_fma_f32 v27, v37, v13, -v32
	v_cvt_f64_f32_e32 v[4:5], v16
	v_cvt_f64_f32_e32 v[6:7], v17
	;; [unrolled: 1-line block ×12, first 2 shown]
	v_mad_co_u64_u32 v[29:30], null, s6, v24, 0
	v_mad_co_u64_u32 v[31:32], null, s4, v39, 0
	s_delay_alu instid0(VALU_DEP_1) | instskip(NEXT) | instid1(VALU_DEP_1)
	v_mad_co_u64_u32 v[33:34], null, s7, v24, v[30:31]
	v_mov_b32_e32 v30, v33
	s_delay_alu instid0(VALU_DEP_3)
	v_mad_co_u64_u32 v[34:35], null, s5, v39, v[32:33]
	s_wait_alu 0xfffe
	v_mul_f64_e32 v[0:1], s[2:3], v[0:1]
	v_mul_f64_e32 v[2:3], s[2:3], v[2:3]
	v_lshlrev_b64_e32 v[29:30], 3, v[29:30]
	v_mul_f64_e32 v[4:5], s[2:3], v[4:5]
	v_mul_f64_e32 v[6:7], s[2:3], v[6:7]
	v_mul_f64_e32 v[8:9], s[2:3], v[8:9]
	v_mul_f64_e32 v[10:11], s[2:3], v[10:11]
	v_mul_f64_e32 v[12:13], s[2:3], v[12:13]
	v_mul_f64_e32 v[14:15], s[2:3], v[14:15]
	v_mul_f64_e32 v[16:17], s[2:3], v[16:17]
	v_mul_f64_e32 v[18:19], s[2:3], v[18:19]
	v_mul_f64_e32 v[20:21], s[2:3], v[20:21]
	v_mul_f64_e32 v[22:23], s[2:3], v[22:23]
	v_mul_f64_e32 v[25:26], s[2:3], v[25:26]
	v_mul_f64_e32 v[27:28], s[2:3], v[27:28]
	v_mov_b32_e32 v32, v34
	v_add_co_u32 v24, vcc_lo, s0, v29
	s_wait_alu 0xfffd
	v_add_co_ci_u32_e32 v29, vcc_lo, s1, v30, vcc_lo
	s_delay_alu instid0(VALU_DEP_3)
	v_lshlrev_b64_e32 v[31:32], 3, v[31:32]
	s_mul_u64 s[0:1], s[4:5], 0x188
	v_cvt_f32_f64_e32 v0, v[0:1]
	v_cvt_f32_f64_e32 v1, v[2:3]
	;; [unrolled: 1-line block ×14, first 2 shown]
	v_add_co_u32 v14, vcc_lo, v24, v31
	s_wait_alu 0xfffd
	v_add_co_ci_u32_e32 v15, vcc_lo, v29, v32, vcc_lo
	s_wait_alu 0xfffe
	s_delay_alu instid0(VALU_DEP_2) | instskip(SKIP_1) | instid1(VALU_DEP_2)
	v_add_co_u32 v16, vcc_lo, v14, s0
	s_wait_alu 0xfffd
	v_add_co_ci_u32_e32 v17, vcc_lo, s1, v15, vcc_lo
	s_delay_alu instid0(VALU_DEP_2) | instskip(SKIP_1) | instid1(VALU_DEP_2)
	v_add_co_u32 v18, vcc_lo, v16, s0
	s_wait_alu 0xfffd
	v_add_co_ci_u32_e32 v19, vcc_lo, s1, v17, vcc_lo
	s_delay_alu instid0(VALU_DEP_2) | instskip(SKIP_1) | instid1(VALU_DEP_2)
	v_add_co_u32 v20, vcc_lo, v18, s0
	s_wait_alu 0xfffd
	v_add_co_ci_u32_e32 v21, vcc_lo, s1, v19, vcc_lo
	s_delay_alu instid0(VALU_DEP_2) | instskip(SKIP_1) | instid1(VALU_DEP_2)
	v_add_co_u32 v22, vcc_lo, v20, s0
	s_wait_alu 0xfffd
	v_add_co_ci_u32_e32 v23, vcc_lo, s1, v21, vcc_lo
	s_delay_alu instid0(VALU_DEP_2) | instskip(SKIP_1) | instid1(VALU_DEP_2)
	v_add_co_u32 v24, vcc_lo, v22, s0
	s_wait_alu 0xfffd
	v_add_co_ci_u32_e32 v25, vcc_lo, s1, v23, vcc_lo
	s_delay_alu instid0(VALU_DEP_2) | instskip(SKIP_1) | instid1(VALU_DEP_2)
	v_add_co_u32 v26, vcc_lo, v24, s0
	s_wait_alu 0xfffd
	v_add_co_ci_u32_e32 v27, vcc_lo, s1, v25, vcc_lo
	s_clause 0x4
	global_store_b64 v[14:15], v[0:1], off
	global_store_b64 v[16:17], v[2:3], off
	;; [unrolled: 1-line block ×7, first 2 shown]
.LBB0_2:
	s_nop 0
	s_sendmsg sendmsg(MSG_DEALLOC_VGPRS)
	s_endpgm
	.section	.rodata,"a",@progbits
	.p2align	6, 0x0
	.amdhsa_kernel bluestein_single_fwd_len343_dim1_sp_op_CI_CI
		.amdhsa_group_segment_fixed_size 13720
		.amdhsa_private_segment_fixed_size 0
		.amdhsa_kernarg_size 104
		.amdhsa_user_sgpr_count 2
		.amdhsa_user_sgpr_dispatch_ptr 0
		.amdhsa_user_sgpr_queue_ptr 0
		.amdhsa_user_sgpr_kernarg_segment_ptr 1
		.amdhsa_user_sgpr_dispatch_id 0
		.amdhsa_user_sgpr_private_segment_size 0
		.amdhsa_wavefront_size32 1
		.amdhsa_uses_dynamic_stack 0
		.amdhsa_enable_private_segment 0
		.amdhsa_system_sgpr_workgroup_id_x 1
		.amdhsa_system_sgpr_workgroup_id_y 0
		.amdhsa_system_sgpr_workgroup_id_z 0
		.amdhsa_system_sgpr_workgroup_info 0
		.amdhsa_system_vgpr_workitem_id 0
		.amdhsa_next_free_vgpr 80
		.amdhsa_next_free_sgpr 20
		.amdhsa_reserve_vcc 1
		.amdhsa_float_round_mode_32 0
		.amdhsa_float_round_mode_16_64 0
		.amdhsa_float_denorm_mode_32 3
		.amdhsa_float_denorm_mode_16_64 3
		.amdhsa_fp16_overflow 0
		.amdhsa_workgroup_processor_mode 1
		.amdhsa_memory_ordered 1
		.amdhsa_forward_progress 0
		.amdhsa_round_robin_scheduling 0
		.amdhsa_exception_fp_ieee_invalid_op 0
		.amdhsa_exception_fp_denorm_src 0
		.amdhsa_exception_fp_ieee_div_zero 0
		.amdhsa_exception_fp_ieee_overflow 0
		.amdhsa_exception_fp_ieee_underflow 0
		.amdhsa_exception_fp_ieee_inexact 0
		.amdhsa_exception_int_div_zero 0
	.end_amdhsa_kernel
	.text
.Lfunc_end0:
	.size	bluestein_single_fwd_len343_dim1_sp_op_CI_CI, .Lfunc_end0-bluestein_single_fwd_len343_dim1_sp_op_CI_CI
                                        ; -- End function
	.section	.AMDGPU.csdata,"",@progbits
; Kernel info:
; codeLenInByte = 6368
; NumSgprs: 22
; NumVgprs: 80
; ScratchSize: 0
; MemoryBound: 0
; FloatMode: 240
; IeeeMode: 1
; LDSByteSize: 13720 bytes/workgroup (compile time only)
; SGPRBlocks: 2
; VGPRBlocks: 9
; NumSGPRsForWavesPerEU: 22
; NumVGPRsForWavesPerEU: 80
; Occupancy: 16
; WaveLimiterHint : 1
; COMPUTE_PGM_RSRC2:SCRATCH_EN: 0
; COMPUTE_PGM_RSRC2:USER_SGPR: 2
; COMPUTE_PGM_RSRC2:TRAP_HANDLER: 0
; COMPUTE_PGM_RSRC2:TGID_X_EN: 1
; COMPUTE_PGM_RSRC2:TGID_Y_EN: 0
; COMPUTE_PGM_RSRC2:TGID_Z_EN: 0
; COMPUTE_PGM_RSRC2:TIDIG_COMP_CNT: 0
	.text
	.p2alignl 7, 3214868480
	.fill 96, 4, 3214868480
	.type	__hip_cuid_66677ba8ee5b3ecd,@object ; @__hip_cuid_66677ba8ee5b3ecd
	.section	.bss,"aw",@nobits
	.globl	__hip_cuid_66677ba8ee5b3ecd
__hip_cuid_66677ba8ee5b3ecd:
	.byte	0                               ; 0x0
	.size	__hip_cuid_66677ba8ee5b3ecd, 1

	.ident	"AMD clang version 19.0.0git (https://github.com/RadeonOpenCompute/llvm-project roc-6.4.0 25133 c7fe45cf4b819c5991fe208aaa96edf142730f1d)"
	.section	".note.GNU-stack","",@progbits
	.addrsig
	.addrsig_sym __hip_cuid_66677ba8ee5b3ecd
	.amdgpu_metadata
---
amdhsa.kernels:
  - .args:
      - .actual_access:  read_only
        .address_space:  global
        .offset:         0
        .size:           8
        .value_kind:     global_buffer
      - .actual_access:  read_only
        .address_space:  global
        .offset:         8
        .size:           8
        .value_kind:     global_buffer
      - .actual_access:  read_only
        .address_space:  global
        .offset:         16
        .size:           8
        .value_kind:     global_buffer
      - .actual_access:  read_only
        .address_space:  global
        .offset:         24
        .size:           8
        .value_kind:     global_buffer
      - .actual_access:  read_only
        .address_space:  global
        .offset:         32
        .size:           8
        .value_kind:     global_buffer
      - .offset:         40
        .size:           8
        .value_kind:     by_value
      - .address_space:  global
        .offset:         48
        .size:           8
        .value_kind:     global_buffer
      - .address_space:  global
        .offset:         56
        .size:           8
        .value_kind:     global_buffer
      - .address_space:  global
        .offset:         64
        .size:           8
        .value_kind:     global_buffer
      - .address_space:  global
        .offset:         72
        .size:           8
        .value_kind:     global_buffer
      - .offset:         80
        .size:           4
        .value_kind:     by_value
      - .address_space:  global
        .offset:         88
        .size:           8
        .value_kind:     global_buffer
      - .address_space:  global
        .offset:         96
        .size:           8
        .value_kind:     global_buffer
    .group_segment_fixed_size: 13720
    .kernarg_segment_align: 8
    .kernarg_segment_size: 104
    .language:       OpenCL C
    .language_version:
      - 2
      - 0
    .max_flat_workgroup_size: 245
    .name:           bluestein_single_fwd_len343_dim1_sp_op_CI_CI
    .private_segment_fixed_size: 0
    .sgpr_count:     22
    .sgpr_spill_count: 0
    .symbol:         bluestein_single_fwd_len343_dim1_sp_op_CI_CI.kd
    .uniform_work_group_size: 1
    .uses_dynamic_stack: false
    .vgpr_count:     80
    .vgpr_spill_count: 0
    .wavefront_size: 32
    .workgroup_processor_mode: 1
amdhsa.target:   amdgcn-amd-amdhsa--gfx1201
amdhsa.version:
  - 1
  - 2
...

	.end_amdgpu_metadata
